;; amdgpu-corpus repo=zjin-lcf/HeCBench kind=compiled arch=gfx1250 opt=O3
	.amdgcn_target "amdgcn-amd-amdhsa--gfx1250"
	.amdhsa_code_object_version 6
	.section	.text._Z4hmaxI7__half2EvPKT_S3_PS1_m,"axG",@progbits,_Z4hmaxI7__half2EvPKT_S3_PS1_m,comdat
	.protected	_Z4hmaxI7__half2EvPKT_S3_PS1_m ; -- Begin function _Z4hmaxI7__half2EvPKT_S3_PS1_m
	.globl	_Z4hmaxI7__half2EvPKT_S3_PS1_m
	.p2align	8
	.type	_Z4hmaxI7__half2EvPKT_S3_PS1_m,@function
_Z4hmaxI7__half2EvPKT_S3_PS1_m:         ; @_Z4hmaxI7__half2EvPKT_S3_PS1_m
; %bb.0:
	s_clause 0x1
	s_load_b32 s4, s[2:3], 0x2c
	s_load_b64 s[8:9], s[2:3], 0x18
	s_bfe_u32 s5, ttmp6, 0x4000c
	s_and_b32 s6, ttmp6, 15
	s_add_co_i32 s5, s5, 1
	s_getreg_b32 s7, hwreg(HW_REG_IB_STS2, 6, 4)
	s_mul_i32 s5, ttmp9, s5
	v_and_b32_e32 v1, 0x3ff, v0
	s_add_co_i32 s6, s6, s5
	v_mov_b32_e32 v3, 0
	s_mov_b32 s11, 0
	s_wait_kmcnt 0x0
	s_and_b32 s10, s4, 0xffff
	s_cmp_eq_u32 s7, 0
	s_cselect_b32 s4, ttmp9, s6
	s_delay_alu instid0(SALU_CYCLE_1) | instskip(SKIP_1) | instid1(VALU_DEP_1)
	v_mad_u32 v2, s4, s10, v1
	s_mov_b32 s4, exec_lo
	v_cmpx_gt_u64_e64 s[8:9], v[2:3]
	s_cbranch_execz .LBB0_3
; %bb.1:
	s_load_b64 s[12:13], s[0:1], 0x4
	s_wait_xcnt 0x0
	s_add_nc_u64 s[0:1], s[2:3], 32
	v_bfe_u32 v4, v0, 10, 10
	s_load_b32 s14, s[0:1], 0x0
	s_load_b128 s[4:7], s[2:3], 0x0
	s_wait_xcnt 0x0
	s_load_b64 s[0:1], s[2:3], 0x10
	v_bfe_u32 v5, v0, 20, 10
	s_wait_kmcnt 0x0
	v_mul_u32_u24_e32 v4, s13, v4
	s_lshr_b32 s12, s12, 16
	s_delay_alu instid0(SALU_CYCLE_1) | instskip(SKIP_1) | instid1(VALU_DEP_1)
	s_mul_i32 s12, s12, s13
	s_mul_i32 s10, s14, s10
	v_mad_u32 v4, s12, v1, v4
	v_lshlrev_b64_e32 v[0:1], 2, v[2:3]
	s_lshl_b64 s[2:3], s[10:11], 2
	s_mov_b32 s12, s11
	s_delay_alu instid0(VALU_DEP_2)
	v_add_lshl_u32 v4, v4, v5, 3
.LBB0_2:                                ; =>This Inner Loop Header: Depth=1
	s_delay_alu instid0(VALU_DEP_2)
	v_add_nc_u64_e32 v[6:7], s[4:5], v[0:1]
	v_add_nc_u64_e32 v[8:9], s[6:7], v[0:1]
	;; [unrolled: 1-line block ×3, first 2 shown]
	global_load_b32 v10, v[6:7], off
	global_load_b32 v11, v[8:9], off
	v_cmp_le_u64_e32 vcc_lo, s[8:9], v[2:3]
	s_or_b32 s12, vcc_lo, s12
	s_wait_loadcnt 0x0
	v_pk_add_f16 v5, v10, v11 neg_lo:[0,1] neg_hi:[0,1]
	ds_store_b64 v4, v[10:11]
	v_and_b32_e32 v5, 0x80008000, v5
	s_wait_xcnt 0x1
	s_delay_alu instid0(VALU_DEP_1) | instskip(NEXT) | instid1(VALU_DEP_1)
	v_dual_lshrrev_b32 v6, 21, v5 :: v_dual_lshrrev_b32 v5, 13, v5
	v_or_b32_e32 v5, v6, v5
	s_delay_alu instid0(VALU_DEP_1) | instskip(NEXT) | instid1(VALU_DEP_1)
	v_mul_u32_u24_e32 v5, 17, v5
	v_or_b32_e32 v6, 0x3210, v5
	s_wait_xcnt 0x0
	s_delay_alu instid0(VALU_DEP_1) | instskip(SKIP_3) | instid1(VALU_DEP_3)
	v_bfe_u32 v8, v6, 8, 3
	v_and_b32_e32 v5, 4, v5
	v_bfe_u32 v7, v6, 4, 3
	v_bfe_u32 v6, v6, 12, 3
	v_dual_add_nc_u32 v8, v4, v8 :: v_dual_add_nc_u32 v5, v4, v5
	s_delay_alu instid0(VALU_DEP_2)
	v_dual_add_nc_u32 v7, v4, v7 :: v_dual_add_nc_u32 v6, v4, v6
	ds_load_u8 v5, v5
	ds_load_u8 v7, v7
	ds_load_u8 v8, v8
	ds_load_u8 v6, v6
	s_wait_dscnt 0x2
	v_lshl_or_b32 v5, v7, 8, v5
	s_wait_dscnt 0x0
	v_dual_lshlrev_b32 v8, 16, v8 :: v_dual_lshlrev_b32 v9, 24, v6
	v_add_nc_u64_e32 v[6:7], s[0:1], v[0:1]
	v_add_nc_u64_e32 v[0:1], s[2:3], v[0:1]
	s_delay_alu instid0(VALU_DEP_3)
	v_or3_b32 v5, v5, v8, v9
	global_store_b32 v[6:7], v5, off
	s_wait_xcnt 0x0
	s_and_not1_b32 exec_lo, exec_lo, s12
	s_cbranch_execnz .LBB0_2
.LBB0_3:
	s_endpgm
	.section	.rodata,"a",@progbits
	.p2align	6, 0x0
	.amdhsa_kernel _Z4hmaxI7__half2EvPKT_S3_PS1_m
		.amdhsa_group_segment_fixed_size 8192
		.amdhsa_private_segment_fixed_size 0
		.amdhsa_kernarg_size 288
		.amdhsa_user_sgpr_count 4
		.amdhsa_user_sgpr_dispatch_ptr 1
		.amdhsa_user_sgpr_queue_ptr 0
		.amdhsa_user_sgpr_kernarg_segment_ptr 1
		.amdhsa_user_sgpr_dispatch_id 0
		.amdhsa_user_sgpr_kernarg_preload_length 0
		.amdhsa_user_sgpr_kernarg_preload_offset 0
		.amdhsa_user_sgpr_private_segment_size 0
		.amdhsa_wavefront_size32 1
		.amdhsa_uses_dynamic_stack 0
		.amdhsa_enable_private_segment 0
		.amdhsa_system_sgpr_workgroup_id_x 1
		.amdhsa_system_sgpr_workgroup_id_y 0
		.amdhsa_system_sgpr_workgroup_id_z 0
		.amdhsa_system_sgpr_workgroup_info 0
		.amdhsa_system_vgpr_workitem_id 2
		.amdhsa_next_free_vgpr 12
		.amdhsa_next_free_sgpr 15
		.amdhsa_named_barrier_count 0
		.amdhsa_reserve_vcc 1
		.amdhsa_float_round_mode_32 0
		.amdhsa_float_round_mode_16_64 0
		.amdhsa_float_denorm_mode_32 3
		.amdhsa_float_denorm_mode_16_64 3
		.amdhsa_fp16_overflow 0
		.amdhsa_memory_ordered 1
		.amdhsa_forward_progress 1
		.amdhsa_inst_pref_size 5
		.amdhsa_round_robin_scheduling 0
		.amdhsa_exception_fp_ieee_invalid_op 0
		.amdhsa_exception_fp_denorm_src 0
		.amdhsa_exception_fp_ieee_div_zero 0
		.amdhsa_exception_fp_ieee_overflow 0
		.amdhsa_exception_fp_ieee_underflow 0
		.amdhsa_exception_fp_ieee_inexact 0
		.amdhsa_exception_int_div_zero 0
	.end_amdhsa_kernel
	.section	.text._Z4hmaxI7__half2EvPKT_S3_PS1_m,"axG",@progbits,_Z4hmaxI7__half2EvPKT_S3_PS1_m,comdat
.Lfunc_end0:
	.size	_Z4hmaxI7__half2EvPKT_S3_PS1_m, .Lfunc_end0-_Z4hmaxI7__half2EvPKT_S3_PS1_m
                                        ; -- End function
	.set _Z4hmaxI7__half2EvPKT_S3_PS1_m.num_vgpr, 12
	.set _Z4hmaxI7__half2EvPKT_S3_PS1_m.num_agpr, 0
	.set _Z4hmaxI7__half2EvPKT_S3_PS1_m.numbered_sgpr, 15
	.set _Z4hmaxI7__half2EvPKT_S3_PS1_m.num_named_barrier, 0
	.set _Z4hmaxI7__half2EvPKT_S3_PS1_m.private_seg_size, 0
	.set _Z4hmaxI7__half2EvPKT_S3_PS1_m.uses_vcc, 1
	.set _Z4hmaxI7__half2EvPKT_S3_PS1_m.uses_flat_scratch, 0
	.set _Z4hmaxI7__half2EvPKT_S3_PS1_m.has_dyn_sized_stack, 0
	.set _Z4hmaxI7__half2EvPKT_S3_PS1_m.has_recursion, 0
	.set _Z4hmaxI7__half2EvPKT_S3_PS1_m.has_indirect_call, 0
	.section	.AMDGPU.csdata,"",@progbits
; Kernel info:
; codeLenInByte = 516
; TotalNumSgprs: 17
; NumVgprs: 12
; ScratchSize: 0
; MemoryBound: 0
; FloatMode: 240
; IeeeMode: 1
; LDSByteSize: 8192 bytes/workgroup (compile time only)
; SGPRBlocks: 0
; VGPRBlocks: 0
; NumSGPRsForWavesPerEU: 17
; NumVGPRsForWavesPerEU: 12
; NamedBarCnt: 0
; Occupancy: 16
; WaveLimiterHint : 0
; COMPUTE_PGM_RSRC2:SCRATCH_EN: 0
; COMPUTE_PGM_RSRC2:USER_SGPR: 4
; COMPUTE_PGM_RSRC2:TRAP_HANDLER: 0
; COMPUTE_PGM_RSRC2:TGID_X_EN: 1
; COMPUTE_PGM_RSRC2:TGID_Y_EN: 0
; COMPUTE_PGM_RSRC2:TGID_Z_EN: 0
; COMPUTE_PGM_RSRC2:TIDIG_COMP_CNT: 2
	.section	.text._Z4hmaxI6__halfEvPKT_S3_PS1_m,"axG",@progbits,_Z4hmaxI6__halfEvPKT_S3_PS1_m,comdat
	.protected	_Z4hmaxI6__halfEvPKT_S3_PS1_m ; -- Begin function _Z4hmaxI6__halfEvPKT_S3_PS1_m
	.globl	_Z4hmaxI6__halfEvPKT_S3_PS1_m
	.p2align	8
	.type	_Z4hmaxI6__halfEvPKT_S3_PS1_m,@function
_Z4hmaxI6__halfEvPKT_S3_PS1_m:          ; @_Z4hmaxI6__halfEvPKT_S3_PS1_m
; %bb.0:
	s_clause 0x1
	s_load_b32 s4, s[2:3], 0x2c
	s_load_b64 s[8:9], s[2:3], 0x18
	s_bfe_u32 s5, ttmp6, 0x4000c
	s_and_b32 s6, ttmp6, 15
	s_add_co_i32 s5, s5, 1
	s_getreg_b32 s7, hwreg(HW_REG_IB_STS2, 6, 4)
	s_mul_i32 s5, ttmp9, s5
	v_and_b32_e32 v1, 0x3ff, v0
	s_add_co_i32 s6, s6, s5
	v_mov_b32_e32 v3, 0
	s_mov_b32 s11, 0
	s_wait_kmcnt 0x0
	s_and_b32 s10, s4, 0xffff
	s_cmp_eq_u32 s7, 0
	s_cselect_b32 s4, ttmp9, s6
	s_delay_alu instid0(SALU_CYCLE_1) | instskip(SKIP_1) | instid1(VALU_DEP_1)
	v_mad_u32 v2, s4, s10, v1
	s_mov_b32 s4, exec_lo
	v_cmpx_gt_u64_e64 s[8:9], v[2:3]
	s_cbranch_execz .LBB1_3
; %bb.1:
	s_load_b64 s[12:13], s[0:1], 0x4
	s_wait_xcnt 0x0
	s_add_nc_u64 s[0:1], s[2:3], 32
	v_bfe_u32 v4, v0, 10, 10
	s_load_b32 s14, s[0:1], 0x0
	s_load_b128 s[4:7], s[2:3], 0x0
	s_wait_xcnt 0x0
	s_load_b64 s[0:1], s[2:3], 0x10
	v_bfe_u32 v5, v0, 20, 10
	s_wait_kmcnt 0x0
	v_mul_u32_u24_e32 v4, s13, v4
	s_lshr_b32 s12, s12, 16
	s_delay_alu instid0(SALU_CYCLE_1) | instskip(SKIP_1) | instid1(VALU_DEP_1)
	s_mul_i32 s12, s12, s13
	s_mul_i32 s10, s14, s10
	v_mad_u32 v4, s12, v1, v4
	v_lshlrev_b64_e32 v[0:1], 1, v[2:3]
	s_lshl_b64 s[2:3], s[10:11], 1
	s_mov_b32 s12, s11
	s_delay_alu instid0(VALU_DEP_2)
	v_add_lshl_u32 v4, v4, v5, 3
.LBB1_2:                                ; =>This Inner Loop Header: Depth=1
	s_delay_alu instid0(VALU_DEP_2)
	v_add_nc_u64_e32 v[6:7], s[4:5], v[0:1]
	v_add_nc_u64_e32 v[8:9], s[6:7], v[0:1]
	v_add_nc_u64_e32 v[2:3], s[10:11], v[2:3]
	global_load_u16 v5, v[6:7], off
	global_load_u16 v10, v[8:9], off
	v_cmp_le_u64_e32 vcc_lo, s[8:9], v[2:3]
	s_or_b32 s12, vcc_lo, s12
	s_wait_loadcnt 0x0
	s_wait_xcnt 0x1
	v_sub_f16_e32 v6, v5, v10
	v_bfe_i32 v7, v10, 0, 16
	s_delay_alu instid0(VALU_DEP_2) | instskip(NEXT) | instid1(VALU_DEP_1)
	v_lshrrev_b16 v6, 13, v6
	v_and_b32_e32 v6, 4, v6
	s_delay_alu instid0(VALU_DEP_1) | instskip(NEXT) | instid1(VALU_DEP_1)
	v_mul_lo_u16 v6, v6, 17
	v_or_b32_e32 v6, 16, v6
	s_delay_alu instid0(VALU_DEP_1) | instskip(SKIP_1) | instid1(VALU_DEP_1)
	v_and_b32_e32 v6, 0xffff, v6
	s_wait_xcnt 0x0
	v_dual_lshrrev_b32 v8, 4, v6 :: v_dual_bitop2_b32 v9, 4, v6 bitop3:0x40
	v_bfe_i32 v6, v5, 0, 16
	s_delay_alu instid0(VALU_DEP_2)
	v_dual_add_nc_u32 v5, v4, v8 :: v_dual_add_nc_u32 v8, v4, v9
	ds_store_b64 v4, v[6:7]
	v_add_nc_u64_e32 v[6:7], s[0:1], v[0:1]
	v_add_nc_u64_e32 v[0:1], s[2:3], v[0:1]
	ds_load_u8 v5, v5
	ds_load_u8 v8, v8
	s_wait_dscnt 0x1
	v_lshlrev_b16 v5, 8, v5
	s_wait_dscnt 0x0
	s_delay_alu instid0(VALU_DEP_1)
	v_or_b32_e32 v5, v5, v8
	global_store_b16 v[6:7], v5, off
	s_wait_xcnt 0x0
	s_and_not1_b32 exec_lo, exec_lo, s12
	s_cbranch_execnz .LBB1_2
.LBB1_3:
	s_endpgm
	.section	.rodata,"a",@progbits
	.p2align	6, 0x0
	.amdhsa_kernel _Z4hmaxI6__halfEvPKT_S3_PS1_m
		.amdhsa_group_segment_fixed_size 8192
		.amdhsa_private_segment_fixed_size 0
		.amdhsa_kernarg_size 288
		.amdhsa_user_sgpr_count 4
		.amdhsa_user_sgpr_dispatch_ptr 1
		.amdhsa_user_sgpr_queue_ptr 0
		.amdhsa_user_sgpr_kernarg_segment_ptr 1
		.amdhsa_user_sgpr_dispatch_id 0
		.amdhsa_user_sgpr_kernarg_preload_length 0
		.amdhsa_user_sgpr_kernarg_preload_offset 0
		.amdhsa_user_sgpr_private_segment_size 0
		.amdhsa_wavefront_size32 1
		.amdhsa_uses_dynamic_stack 0
		.amdhsa_enable_private_segment 0
		.amdhsa_system_sgpr_workgroup_id_x 1
		.amdhsa_system_sgpr_workgroup_id_y 0
		.amdhsa_system_sgpr_workgroup_id_z 0
		.amdhsa_system_sgpr_workgroup_info 0
		.amdhsa_system_vgpr_workitem_id 2
		.amdhsa_next_free_vgpr 11
		.amdhsa_next_free_sgpr 15
		.amdhsa_named_barrier_count 0
		.amdhsa_reserve_vcc 1
		.amdhsa_float_round_mode_32 0
		.amdhsa_float_round_mode_16_64 0
		.amdhsa_float_denorm_mode_32 3
		.amdhsa_float_denorm_mode_16_64 3
		.amdhsa_fp16_overflow 0
		.amdhsa_memory_ordered 1
		.amdhsa_forward_progress 1
		.amdhsa_inst_pref_size 4
		.amdhsa_round_robin_scheduling 0
		.amdhsa_exception_fp_ieee_invalid_op 0
		.amdhsa_exception_fp_denorm_src 0
		.amdhsa_exception_fp_ieee_div_zero 0
		.amdhsa_exception_fp_ieee_overflow 0
		.amdhsa_exception_fp_ieee_underflow 0
		.amdhsa_exception_fp_ieee_inexact 0
		.amdhsa_exception_int_div_zero 0
	.end_amdhsa_kernel
	.section	.text._Z4hmaxI6__halfEvPKT_S3_PS1_m,"axG",@progbits,_Z4hmaxI6__halfEvPKT_S3_PS1_m,comdat
.Lfunc_end1:
	.size	_Z4hmaxI6__halfEvPKT_S3_PS1_m, .Lfunc_end1-_Z4hmaxI6__halfEvPKT_S3_PS1_m
                                        ; -- End function
	.set _Z4hmaxI6__halfEvPKT_S3_PS1_m.num_vgpr, 11
	.set _Z4hmaxI6__halfEvPKT_S3_PS1_m.num_agpr, 0
	.set _Z4hmaxI6__halfEvPKT_S3_PS1_m.numbered_sgpr, 15
	.set _Z4hmaxI6__halfEvPKT_S3_PS1_m.num_named_barrier, 0
	.set _Z4hmaxI6__halfEvPKT_S3_PS1_m.private_seg_size, 0
	.set _Z4hmaxI6__halfEvPKT_S3_PS1_m.uses_vcc, 1
	.set _Z4hmaxI6__halfEvPKT_S3_PS1_m.uses_flat_scratch, 0
	.set _Z4hmaxI6__halfEvPKT_S3_PS1_m.has_dyn_sized_stack, 0
	.set _Z4hmaxI6__halfEvPKT_S3_PS1_m.has_recursion, 0
	.set _Z4hmaxI6__halfEvPKT_S3_PS1_m.has_indirect_call, 0
	.section	.AMDGPU.csdata,"",@progbits
; Kernel info:
; codeLenInByte = 464
; TotalNumSgprs: 17
; NumVgprs: 11
; ScratchSize: 0
; MemoryBound: 0
; FloatMode: 240
; IeeeMode: 1
; LDSByteSize: 8192 bytes/workgroup (compile time only)
; SGPRBlocks: 0
; VGPRBlocks: 0
; NumSGPRsForWavesPerEU: 17
; NumVGPRsForWavesPerEU: 11
; NamedBarCnt: 0
; Occupancy: 16
; WaveLimiterHint : 0
; COMPUTE_PGM_RSRC2:SCRATCH_EN: 0
; COMPUTE_PGM_RSRC2:USER_SGPR: 4
; COMPUTE_PGM_RSRC2:TRAP_HANDLER: 0
; COMPUTE_PGM_RSRC2:TGID_X_EN: 1
; COMPUTE_PGM_RSRC2:TGID_Y_EN: 0
; COMPUTE_PGM_RSRC2:TGID_Z_EN: 0
; COMPUTE_PGM_RSRC2:TIDIG_COMP_CNT: 2
	.section	.AMDGPU.gpr_maximums,"",@progbits
	.set amdgpu.max_num_vgpr, 0
	.set amdgpu.max_num_agpr, 0
	.set amdgpu.max_num_sgpr, 0
	.section	.AMDGPU.csdata,"",@progbits
	.type	__hip_cuid_9fc553fc51c6a4ae,@object ; @__hip_cuid_9fc553fc51c6a4ae
	.section	.bss,"aw",@nobits
	.globl	__hip_cuid_9fc553fc51c6a4ae
__hip_cuid_9fc553fc51c6a4ae:
	.byte	0                               ; 0x0
	.size	__hip_cuid_9fc553fc51c6a4ae, 1

	.ident	"AMD clang version 22.0.0git (https://github.com/RadeonOpenCompute/llvm-project roc-7.2.4 26084 f58b06dce1f9c15707c5f808fd002e18c2accf7e)"
	.section	".note.GNU-stack","",@progbits
	.addrsig
	.addrsig_sym __hip_cuid_9fc553fc51c6a4ae
	.amdgpu_metadata
---
amdhsa.kernels:
  - .args:
      - .actual_access:  read_only
        .address_space:  global
        .offset:         0
        .size:           8
        .value_kind:     global_buffer
      - .actual_access:  read_only
        .address_space:  global
        .offset:         8
        .size:           8
        .value_kind:     global_buffer
      - .actual_access:  write_only
        .address_space:  global
        .offset:         16
        .size:           8
        .value_kind:     global_buffer
      - .offset:         24
        .size:           8
        .value_kind:     by_value
      - .offset:         32
        .size:           4
        .value_kind:     hidden_block_count_x
      - .offset:         36
        .size:           4
        .value_kind:     hidden_block_count_y
      - .offset:         40
        .size:           4
        .value_kind:     hidden_block_count_z
      - .offset:         44
        .size:           2
        .value_kind:     hidden_group_size_x
      - .offset:         46
        .size:           2
        .value_kind:     hidden_group_size_y
      - .offset:         48
        .size:           2
        .value_kind:     hidden_group_size_z
      - .offset:         50
        .size:           2
        .value_kind:     hidden_remainder_x
      - .offset:         52
        .size:           2
        .value_kind:     hidden_remainder_y
      - .offset:         54
        .size:           2
        .value_kind:     hidden_remainder_z
      - .offset:         72
        .size:           8
        .value_kind:     hidden_global_offset_x
      - .offset:         80
        .size:           8
        .value_kind:     hidden_global_offset_y
      - .offset:         88
        .size:           8
        .value_kind:     hidden_global_offset_z
      - .offset:         96
        .size:           2
        .value_kind:     hidden_grid_dims
    .group_segment_fixed_size: 8192
    .kernarg_segment_align: 8
    .kernarg_segment_size: 288
    .language:       OpenCL C
    .language_version:
      - 2
      - 0
    .max_flat_workgroup_size: 1024
    .name:           _Z4hmaxI7__half2EvPKT_S3_PS1_m
    .private_segment_fixed_size: 0
    .sgpr_count:     17
    .sgpr_spill_count: 0
    .symbol:         _Z4hmaxI7__half2EvPKT_S3_PS1_m.kd
    .uniform_work_group_size: 1
    .uses_dynamic_stack: false
    .vgpr_count:     12
    .vgpr_spill_count: 0
    .wavefront_size: 32
  - .args:
      - .actual_access:  read_only
        .address_space:  global
        .offset:         0
        .size:           8
        .value_kind:     global_buffer
      - .actual_access:  read_only
        .address_space:  global
        .offset:         8
        .size:           8
        .value_kind:     global_buffer
      - .actual_access:  write_only
        .address_space:  global
        .offset:         16
        .size:           8
        .value_kind:     global_buffer
      - .offset:         24
        .size:           8
        .value_kind:     by_value
      - .offset:         32
        .size:           4
        .value_kind:     hidden_block_count_x
      - .offset:         36
        .size:           4
        .value_kind:     hidden_block_count_y
      - .offset:         40
        .size:           4
        .value_kind:     hidden_block_count_z
      - .offset:         44
        .size:           2
        .value_kind:     hidden_group_size_x
      - .offset:         46
        .size:           2
        .value_kind:     hidden_group_size_y
      - .offset:         48
        .size:           2
        .value_kind:     hidden_group_size_z
      - .offset:         50
        .size:           2
        .value_kind:     hidden_remainder_x
      - .offset:         52
        .size:           2
        .value_kind:     hidden_remainder_y
      - .offset:         54
        .size:           2
        .value_kind:     hidden_remainder_z
      - .offset:         72
        .size:           8
        .value_kind:     hidden_global_offset_x
      - .offset:         80
        .size:           8
        .value_kind:     hidden_global_offset_y
      - .offset:         88
        .size:           8
        .value_kind:     hidden_global_offset_z
      - .offset:         96
        .size:           2
        .value_kind:     hidden_grid_dims
    .group_segment_fixed_size: 8192
    .kernarg_segment_align: 8
    .kernarg_segment_size: 288
    .language:       OpenCL C
    .language_version:
      - 2
      - 0
    .max_flat_workgroup_size: 1024
    .name:           _Z4hmaxI6__halfEvPKT_S3_PS1_m
    .private_segment_fixed_size: 0
    .sgpr_count:     17
    .sgpr_spill_count: 0
    .symbol:         _Z4hmaxI6__halfEvPKT_S3_PS1_m.kd
    .uniform_work_group_size: 1
    .uses_dynamic_stack: false
    .vgpr_count:     11
    .vgpr_spill_count: 0
    .wavefront_size: 32
amdhsa.target:   amdgcn-amd-amdhsa--gfx1250
amdhsa.version:
  - 1
  - 2
...

	.end_amdgpu_metadata
